;; amdgpu-corpus repo=ROCm/rocFFT kind=compiled arch=gfx906 opt=O3
	.text
	.amdgcn_target "amdgcn-amd-amdhsa--gfx906"
	.amdhsa_code_object_version 6
	.protected	fft_rtc_back_len1458_factors_6_3_3_3_3_3_wgs_243_tpt_243_halfLds_dp_op_CI_CI_sbrr_dirReg ; -- Begin function fft_rtc_back_len1458_factors_6_3_3_3_3_3_wgs_243_tpt_243_halfLds_dp_op_CI_CI_sbrr_dirReg
	.globl	fft_rtc_back_len1458_factors_6_3_3_3_3_3_wgs_243_tpt_243_halfLds_dp_op_CI_CI_sbrr_dirReg
	.p2align	8
	.type	fft_rtc_back_len1458_factors_6_3_3_3_3_3_wgs_243_tpt_243_halfLds_dp_op_CI_CI_sbrr_dirReg,@function
fft_rtc_back_len1458_factors_6_3_3_3_3_3_wgs_243_tpt_243_halfLds_dp_op_CI_CI_sbrr_dirReg: ; @fft_rtc_back_len1458_factors_6_3_3_3_3_3_wgs_243_tpt_243_halfLds_dp_op_CI_CI_sbrr_dirReg
; %bb.0:
	s_load_dwordx4 s[16:19], s[4:5], 0x18
	s_load_dwordx4 s[12:15], s[4:5], 0x0
	;; [unrolled: 1-line block ×3, first 2 shown]
	v_mul_u32_u24_e32 v1, 0x10e, v0
	v_add_u32_sdwa v6, s6, v1 dst_sel:DWORD dst_unused:UNUSED_PAD src0_sel:DWORD src1_sel:WORD_1
	s_waitcnt lgkmcnt(0)
	s_load_dwordx2 s[20:21], s[16:17], 0x0
	s_load_dwordx2 s[2:3], s[18:19], 0x0
	v_cmp_lt_u64_e64 s[0:1], s[14:15], 2
	v_mov_b32_e32 v1, 0
	v_mov_b32_e32 v4, 0
	;; [unrolled: 1-line block ×3, first 2 shown]
	s_and_b64 vcc, exec, s[0:1]
	v_mov_b32_e32 v5, 0
	s_cbranch_vccnz .LBB0_8
; %bb.1:
	s_load_dwordx2 s[0:1], s[4:5], 0x10
	s_add_u32 s6, s18, 8
	s_addc_u32 s7, s19, 0
	s_add_u32 s22, s16, 8
	v_mov_b32_e32 v4, 0
	s_addc_u32 s23, s17, 0
	v_mov_b32_e32 v5, 0
	s_waitcnt lgkmcnt(0)
	s_add_u32 s24, s0, 8
	v_mov_b32_e32 v25, v5
	s_addc_u32 s25, s1, 0
	s_mov_b64 s[26:27], 1
	v_mov_b32_e32 v24, v4
.LBB0_2:                                ; =>This Inner Loop Header: Depth=1
	s_load_dwordx2 s[28:29], s[24:25], 0x0
                                        ; implicit-def: $vgpr26_vgpr27
	s_waitcnt lgkmcnt(0)
	v_or_b32_e32 v2, s29, v7
	v_cmp_ne_u64_e32 vcc, 0, v[1:2]
	s_and_saveexec_b64 s[0:1], vcc
	s_xor_b64 s[30:31], exec, s[0:1]
	s_cbranch_execz .LBB0_4
; %bb.3:                                ;   in Loop: Header=BB0_2 Depth=1
	v_cvt_f32_u32_e32 v2, s28
	v_cvt_f32_u32_e32 v3, s29
	s_sub_u32 s0, 0, s28
	s_subb_u32 s1, 0, s29
	v_mac_f32_e32 v2, 0x4f800000, v3
	v_rcp_f32_e32 v2, v2
	v_mul_f32_e32 v2, 0x5f7ffffc, v2
	v_mul_f32_e32 v3, 0x2f800000, v2
	v_trunc_f32_e32 v3, v3
	v_mac_f32_e32 v2, 0xcf800000, v3
	v_cvt_u32_f32_e32 v3, v3
	v_cvt_u32_f32_e32 v2, v2
	v_mul_lo_u32 v8, s0, v3
	v_mul_hi_u32 v9, s0, v2
	v_mul_lo_u32 v11, s1, v2
	v_mul_lo_u32 v10, s0, v2
	v_add_u32_e32 v8, v9, v8
	v_add_u32_e32 v8, v8, v11
	v_mul_hi_u32 v9, v2, v10
	v_mul_lo_u32 v11, v2, v8
	v_mul_hi_u32 v13, v2, v8
	v_mul_hi_u32 v12, v3, v10
	v_mul_lo_u32 v10, v3, v10
	v_mul_hi_u32 v14, v3, v8
	v_add_co_u32_e32 v9, vcc, v9, v11
	v_addc_co_u32_e32 v11, vcc, 0, v13, vcc
	v_mul_lo_u32 v8, v3, v8
	v_add_co_u32_e32 v9, vcc, v9, v10
	v_addc_co_u32_e32 v9, vcc, v11, v12, vcc
	v_addc_co_u32_e32 v10, vcc, 0, v14, vcc
	v_add_co_u32_e32 v8, vcc, v9, v8
	v_addc_co_u32_e32 v9, vcc, 0, v10, vcc
	v_add_co_u32_e32 v2, vcc, v2, v8
	v_addc_co_u32_e32 v3, vcc, v3, v9, vcc
	v_mul_lo_u32 v8, s0, v3
	v_mul_hi_u32 v9, s0, v2
	v_mul_lo_u32 v10, s1, v2
	v_mul_lo_u32 v11, s0, v2
	v_add_u32_e32 v8, v9, v8
	v_add_u32_e32 v8, v8, v10
	v_mul_lo_u32 v12, v2, v8
	v_mul_hi_u32 v13, v2, v11
	v_mul_hi_u32 v14, v2, v8
	;; [unrolled: 1-line block ×3, first 2 shown]
	v_mul_lo_u32 v11, v3, v11
	v_mul_hi_u32 v9, v3, v8
	v_add_co_u32_e32 v12, vcc, v13, v12
	v_addc_co_u32_e32 v13, vcc, 0, v14, vcc
	v_mul_lo_u32 v8, v3, v8
	v_add_co_u32_e32 v11, vcc, v12, v11
	v_addc_co_u32_e32 v10, vcc, v13, v10, vcc
	v_addc_co_u32_e32 v9, vcc, 0, v9, vcc
	v_add_co_u32_e32 v8, vcc, v10, v8
	v_addc_co_u32_e32 v9, vcc, 0, v9, vcc
	v_add_co_u32_e32 v8, vcc, v2, v8
	v_addc_co_u32_e32 v9, vcc, v3, v9, vcc
	v_mad_u64_u32 v[2:3], s[0:1], v6, v9, 0
	v_mul_hi_u32 v10, v6, v8
	v_add_co_u32_e32 v10, vcc, v10, v2
	v_addc_co_u32_e32 v11, vcc, 0, v3, vcc
	v_mad_u64_u32 v[2:3], s[0:1], v7, v8, 0
	v_mad_u64_u32 v[8:9], s[0:1], v7, v9, 0
	v_add_co_u32_e32 v2, vcc, v10, v2
	v_addc_co_u32_e32 v2, vcc, v11, v3, vcc
	v_addc_co_u32_e32 v3, vcc, 0, v9, vcc
	v_add_co_u32_e32 v8, vcc, v2, v8
	v_addc_co_u32_e32 v9, vcc, 0, v3, vcc
	v_mul_lo_u32 v10, s29, v8
	v_mul_lo_u32 v11, s28, v9
	v_mad_u64_u32 v[2:3], s[0:1], s28, v8, 0
	v_add3_u32 v3, v3, v11, v10
	v_sub_u32_e32 v10, v7, v3
	v_mov_b32_e32 v11, s29
	v_sub_co_u32_e32 v2, vcc, v6, v2
	v_subb_co_u32_e64 v10, s[0:1], v10, v11, vcc
	v_subrev_co_u32_e64 v11, s[0:1], s28, v2
	v_subbrev_co_u32_e64 v10, s[0:1], 0, v10, s[0:1]
	v_cmp_le_u32_e64 s[0:1], s29, v10
	v_cndmask_b32_e64 v12, 0, -1, s[0:1]
	v_cmp_le_u32_e64 s[0:1], s28, v11
	v_cndmask_b32_e64 v11, 0, -1, s[0:1]
	v_cmp_eq_u32_e64 s[0:1], s29, v10
	v_cndmask_b32_e64 v10, v12, v11, s[0:1]
	v_add_co_u32_e64 v11, s[0:1], 2, v8
	v_addc_co_u32_e64 v12, s[0:1], 0, v9, s[0:1]
	v_add_co_u32_e64 v13, s[0:1], 1, v8
	v_addc_co_u32_e64 v14, s[0:1], 0, v9, s[0:1]
	v_subb_co_u32_e32 v3, vcc, v7, v3, vcc
	v_cmp_ne_u32_e64 s[0:1], 0, v10
	v_cmp_le_u32_e32 vcc, s29, v3
	v_cndmask_b32_e64 v10, v14, v12, s[0:1]
	v_cndmask_b32_e64 v12, 0, -1, vcc
	v_cmp_le_u32_e32 vcc, s28, v2
	v_cndmask_b32_e64 v2, 0, -1, vcc
	v_cmp_eq_u32_e32 vcc, s29, v3
	v_cndmask_b32_e32 v2, v12, v2, vcc
	v_cmp_ne_u32_e32 vcc, 0, v2
	v_cndmask_b32_e64 v2, v13, v11, s[0:1]
	v_cndmask_b32_e32 v27, v9, v10, vcc
	v_cndmask_b32_e32 v26, v8, v2, vcc
.LBB0_4:                                ;   in Loop: Header=BB0_2 Depth=1
	s_andn2_saveexec_b64 s[0:1], s[30:31]
	s_cbranch_execz .LBB0_6
; %bb.5:                                ;   in Loop: Header=BB0_2 Depth=1
	v_cvt_f32_u32_e32 v2, s28
	s_sub_i32 s30, 0, s28
	v_mov_b32_e32 v27, v1
	v_rcp_iflag_f32_e32 v2, v2
	v_mul_f32_e32 v2, 0x4f7ffffe, v2
	v_cvt_u32_f32_e32 v2, v2
	v_mul_lo_u32 v3, s30, v2
	v_mul_hi_u32 v3, v2, v3
	v_add_u32_e32 v2, v2, v3
	v_mul_hi_u32 v2, v6, v2
	v_mul_lo_u32 v3, v2, s28
	v_add_u32_e32 v8, 1, v2
	v_sub_u32_e32 v3, v6, v3
	v_subrev_u32_e32 v9, s28, v3
	v_cmp_le_u32_e32 vcc, s28, v3
	v_cndmask_b32_e32 v3, v3, v9, vcc
	v_cndmask_b32_e32 v2, v2, v8, vcc
	v_add_u32_e32 v8, 1, v2
	v_cmp_le_u32_e32 vcc, s28, v3
	v_cndmask_b32_e32 v26, v2, v8, vcc
.LBB0_6:                                ;   in Loop: Header=BB0_2 Depth=1
	s_or_b64 exec, exec, s[0:1]
	v_mul_lo_u32 v8, v27, s28
	v_mul_lo_u32 v9, v26, s29
	v_mad_u64_u32 v[2:3], s[0:1], v26, s28, 0
	s_load_dwordx2 s[0:1], s[22:23], 0x0
	s_load_dwordx2 s[28:29], s[6:7], 0x0
	v_add3_u32 v3, v3, v9, v8
	v_sub_co_u32_e32 v2, vcc, v6, v2
	v_subb_co_u32_e32 v3, vcc, v7, v3, vcc
	s_waitcnt lgkmcnt(0)
	v_mul_lo_u32 v6, s0, v3
	v_mul_lo_u32 v7, s1, v2
	v_mad_u64_u32 v[4:5], s[0:1], s0, v2, v[4:5]
	v_mul_lo_u32 v3, s28, v3
	v_mul_lo_u32 v8, s29, v2
	v_mad_u64_u32 v[24:25], s[0:1], s28, v2, v[24:25]
	s_add_u32 s26, s26, 1
	s_addc_u32 s27, s27, 0
	s_add_u32 s6, s6, 8
	v_add3_u32 v25, v8, v25, v3
	s_addc_u32 s7, s7, 0
	v_mov_b32_e32 v2, s14
	s_add_u32 s22, s22, 8
	v_mov_b32_e32 v3, s15
	s_addc_u32 s23, s23, 0
	v_cmp_ge_u64_e32 vcc, s[26:27], v[2:3]
	s_add_u32 s24, s24, 8
	v_add3_u32 v5, v7, v5, v6
	s_addc_u32 s25, s25, 0
	s_cbranch_vccnz .LBB0_9
; %bb.7:                                ;   in Loop: Header=BB0_2 Depth=1
	v_mov_b32_e32 v6, v26
	v_mov_b32_e32 v7, v27
	s_branch .LBB0_2
.LBB0_8:
	v_mov_b32_e32 v25, v5
	v_mov_b32_e32 v27, v7
	;; [unrolled: 1-line block ×4, first 2 shown]
.LBB0_9:
	s_load_dwordx2 s[0:1], s[4:5], 0x28
	s_lshl_b64 s[6:7], s[14:15], 3
	s_add_u32 s14, s18, s6
	s_addc_u32 s15, s19, s7
                                        ; implicit-def: $vgpr28
                                        ; implicit-def: $vgpr29
	s_waitcnt lgkmcnt(0)
	v_cmp_gt_u64_e32 vcc, s[0:1], v[26:27]
	v_cmp_le_u64_e64 s[0:1], s[0:1], v[26:27]
	s_and_saveexec_b64 s[4:5], s[0:1]
	s_xor_b64 s[0:1], exec, s[4:5]
; %bb.10:
	s_mov_b32 s4, 0x10db20b
	v_mul_hi_u32 v1, v0, s4
                                        ; implicit-def: $vgpr4_vgpr5
	v_mul_u32_u24_e32 v1, 0xf3, v1
	v_sub_u32_e32 v28, v0, v1
	v_add_u32_e32 v29, 0xf3, v28
                                        ; implicit-def: $vgpr0
; %bb.11:
	s_or_saveexec_b64 s[4:5], s[0:1]
                                        ; implicit-def: $vgpr2_vgpr3
                                        ; implicit-def: $vgpr18_vgpr19
                                        ; implicit-def: $vgpr14_vgpr15
                                        ; implicit-def: $vgpr22_vgpr23
                                        ; implicit-def: $vgpr10_vgpr11
                                        ; implicit-def: $vgpr6_vgpr7
	s_xor_b64 exec, exec, s[4:5]
	s_cbranch_execz .LBB0_13
; %bb.12:
	s_add_u32 s0, s16, s6
	s_mov_b32 s6, 0x10db20b
	s_addc_u32 s1, s17, s7
	v_mul_hi_u32 v1, v0, s6
	s_load_dwordx2 s[0:1], s[0:1], 0x0
	v_mul_u32_u24_e32 v1, 0xf3, v1
	v_sub_u32_e32 v28, v0, v1
	s_waitcnt lgkmcnt(0)
	v_mul_lo_u32 v8, s1, v26
	v_mad_u64_u32 v[0:1], s[6:7], s20, v28, 0
	v_mul_lo_u32 v9, s0, v27
	v_mad_u64_u32 v[2:3], s[0:1], s0, v26, 0
	v_add_u32_e32 v29, 0xf3, v28
	v_mad_u64_u32 v[6:7], s[0:1], s21, v28, v[1:2]
	v_add3_u32 v3, v3, v9, v8
	v_lshlrev_b64 v[2:3], 4, v[2:3]
	v_mov_b32_e32 v1, v6
	v_mov_b32_e32 v6, s9
	v_add_co_u32_e64 v7, s[0:1], s8, v2
	v_addc_co_u32_e64 v6, s[0:1], v6, v3, s[0:1]
	v_lshlrev_b64 v[2:3], 4, v[4:5]
	v_mad_u64_u32 v[4:5], s[0:1], s20, v29, 0
	v_add_co_u32_e64 v8, s[0:1], v7, v2
	v_mov_b32_e32 v2, v5
	v_addc_co_u32_e64 v9, s[0:1], v6, v3, s[0:1]
	v_mad_u64_u32 v[2:3], s[0:1], s21, v29, v[2:3]
	v_add_u32_e32 v3, 0x1e6, v28
	v_mad_u64_u32 v[6:7], s[0:1], s20, v3, 0
	v_lshlrev_b64 v[0:1], 4, v[0:1]
	v_mov_b32_e32 v5, v2
	v_add_co_u32_e64 v30, s[0:1], v8, v0
	v_mov_b32_e32 v2, v7
	v_addc_co_u32_e64 v31, s[0:1], v9, v1, s[0:1]
	v_lshlrev_b64 v[0:1], 4, v[4:5]
	v_mad_u64_u32 v[2:3], s[0:1], s21, v3, v[2:3]
	v_add_u32_e32 v5, 0x2d9, v28
	v_mad_u64_u32 v[3:4], s[0:1], s20, v5, 0
	v_add_co_u32_e64 v32, s[0:1], v8, v0
	v_mov_b32_e32 v7, v2
	v_mov_b32_e32 v2, v4
	v_addc_co_u32_e64 v33, s[0:1], v9, v1, s[0:1]
	v_lshlrev_b64 v[0:1], 4, v[6:7]
	v_mad_u64_u32 v[4:5], s[0:1], s21, v5, v[2:3]
	v_add_u32_e32 v7, 0x3cc, v28
	v_mad_u64_u32 v[5:6], s[0:1], s20, v7, 0
	v_add_co_u32_e64 v34, s[0:1], v8, v0
	v_mov_b32_e32 v2, v6
	v_addc_co_u32_e64 v35, s[0:1], v9, v1, s[0:1]
	v_lshlrev_b64 v[0:1], 4, v[3:4]
	v_mad_u64_u32 v[2:3], s[0:1], s21, v7, v[2:3]
	v_add_u32_e32 v7, 0x4bf, v28
	v_mad_u64_u32 v[3:4], s[0:1], s20, v7, 0
	v_add_co_u32_e64 v36, s[0:1], v8, v0
	v_mov_b32_e32 v6, v2
	v_mov_b32_e32 v2, v4
	v_addc_co_u32_e64 v37, s[0:1], v9, v1, s[0:1]
	v_lshlrev_b64 v[0:1], 4, v[5:6]
	v_mad_u64_u32 v[4:5], s[0:1], s21, v7, v[2:3]
	v_add_co_u32_e64 v38, s[0:1], v8, v0
	v_addc_co_u32_e64 v39, s[0:1], v9, v1, s[0:1]
	v_lshlrev_b64 v[0:1], 4, v[3:4]
	v_add_co_u32_e64 v40, s[0:1], v8, v0
	v_addc_co_u32_e64 v41, s[0:1], v9, v1, s[0:1]
	global_load_dwordx4 v[4:7], v[30:31], off
	global_load_dwordx4 v[8:11], v[32:33], off
	;; [unrolled: 1-line block ×6, first 2 shown]
.LBB0_13:
	s_or_b64 exec, exec, s[4:5]
	s_waitcnt vmcnt(3)
	v_add_f64 v[30:31], v[20:21], v[4:5]
	s_waitcnt vmcnt(0)
	v_add_f64 v[34:35], v[2:3], v[14:15]
	v_add_f64 v[32:33], v[22:23], v[6:7]
	;; [unrolled: 1-line block ×4, first 2 shown]
	v_add_f64 v[20:21], v[20:21], -v[16:17]
	v_add_f64 v[38:39], v[18:19], v[22:23]
	v_add_f64 v[22:23], v[22:23], -v[18:19]
	v_add_f64 v[16:17], v[16:17], v[30:31]
	v_add_f64 v[30:31], v[12:13], -v[0:1]
	v_fma_f64 v[34:35], v[34:35], -0.5, v[10:11]
	v_add_f64 v[32:33], v[18:19], v[32:33]
	v_add_f64 v[18:19], v[14:15], -v[2:3]
	v_fma_f64 v[40:41], v[40:41], -0.5, v[8:9]
	s_mov_b32 s4, 0xe8584caa
	s_mov_b32 s5, 0xbfebb67a
	;; [unrolled: 1-line block ×4, first 2 shown]
	v_fma_f64 v[42:43], v[30:31], s[6:7], v[34:35]
	v_fma_f64 v[30:31], v[30:31], s[4:5], v[34:35]
	v_add_f64 v[8:9], v[12:13], v[8:9]
	v_add_f64 v[10:11], v[14:15], v[10:11]
	v_fma_f64 v[12:13], v[18:19], s[4:5], v[40:41]
	v_fma_f64 v[4:5], v[36:37], -0.5, v[4:5]
	v_fma_f64 v[14:15], v[38:39], -0.5, v[6:7]
	v_fma_f64 v[18:19], v[18:19], s[6:7], v[40:41]
	v_mul_f64 v[6:7], v[42:43], s[4:5]
	v_mul_f64 v[34:35], v[30:31], s[4:5]
	v_add_f64 v[8:9], v[0:1], v[8:9]
	v_add_f64 v[36:37], v[2:3], v[10:11]
	v_mul_f64 v[2:3], v[12:13], s[6:7]
	v_fma_f64 v[10:11], v[22:23], s[4:5], v[4:5]
	v_fma_f64 v[22:23], v[22:23], s[6:7], v[4:5]
	v_mul_f64 v[4:5], v[30:31], -0.5
	v_fma_f64 v[12:13], v[12:13], 0.5, v[6:7]
	v_fma_f64 v[30:31], v[18:19], -0.5, v[34:35]
	v_fma_f64 v[34:35], v[20:21], s[6:7], v[14:15]
	v_fma_f64 v[14:15], v[20:21], s[4:5], v[14:15]
	v_fma_f64 v[38:39], v[42:43], 0.5, v[2:3]
	v_add_f64 v[0:1], v[8:9], v[16:17]
	v_add_f64 v[6:7], v[16:17], -v[8:9]
	v_fma_f64 v[40:41], v[18:19], s[6:7], v[4:5]
	v_add_f64 v[2:3], v[10:11], v[12:13]
	v_add_f64 v[4:5], v[22:23], v[30:31]
	v_add_f64 v[8:9], v[10:11], -v[12:13]
	v_add_f64 v[10:11], v[22:23], -v[30:31]
	v_add_f64 v[16:17], v[36:37], v[32:33]
	v_add_f64 v[18:19], v[34:35], v[38:39]
	v_add_f64 v[22:23], v[32:33], -v[36:37]
	v_add_f64 v[20:21], v[14:15], v[40:41]
	v_add_f64 v[30:31], v[34:35], -v[38:39]
	v_add_f64 v[32:33], v[14:15], -v[40:41]
	v_mul_u32_u24_e32 v12, 6, v28
	v_lshl_add_u32 v15, v12, 3, 0
	s_movk_i32 s0, 0xffd8
	s_load_dwordx2 s[8:9], s[14:15], 0x0
	ds_write_b128 v15, v[0:3]
	ds_write_b128 v15, v[4:7] offset:16
	ds_write_b128 v15, v[8:11] offset:32
	v_mad_i32_i24 v0, v28, s0, v15
	s_movk_i32 s0, 0xab
	v_mul_lo_u16_sdwa v13, v28, s0 dst_sel:DWORD dst_unused:UNUSED_PAD src0_sel:BYTE_0 src1_sel:DWORD
	v_add_u32_e32 v1, 0xf00, v0
	v_lshrrev_b16_e32 v13, 10, v13
	s_waitcnt lgkmcnt(0)
	s_barrier
	ds_read2_b64 v[3:6], v1 offset0:6 offset1:249
	v_add_u32_e32 v2, 0x1e00, v0
	v_lshl_add_u32 v14, v29, 3, 0
	ds_read_b64 v[11:12], v0
	ds_read_b64 v[38:39], v14
	ds_read2_b64 v[7:10], v2 offset0:12 offset1:255
	s_waitcnt lgkmcnt(0)
	s_barrier
	ds_write_b128 v15, v[16:19]
	ds_write_b128 v15, v[20:23] offset:16
	ds_write_b128 v15, v[30:33] offset:32
	v_mul_lo_u16_e32 v16, 6, v13
	v_sub_u16_e32 v46, v28, v16
	v_mov_b32_e32 v47, 5
	v_lshlrev_b32_sdwa v30, v47, v46 dst_sel:DWORD dst_unused:UNUSED_PAD src0_sel:DWORD src1_sel:BYTE_0
	s_waitcnt lgkmcnt(0)
	s_barrier
	global_load_dwordx4 v[16:19], v30, s[12:13]
	ds_read2_b64 v[20:23], v1 offset0:6 offset1:249
	s_mov_b32 s0, 0xaaab
	v_mul_u32_u24_sdwa v36, v29, s0 dst_sel:DWORD dst_unused:UNUSED_PAD src0_sel:WORD_0 src1_sel:DWORD
	v_lshrrev_b32_e32 v48, 18, v36
	v_mul_lo_u16_e32 v36, 6, v48
	v_sub_u16_e32 v49, v29, v36
	v_lshlrev_b32_e32 v42, 5, v49
	global_load_dwordx4 v[30:33], v30, s[12:13] offset:16
	s_mov_b32 s0, 0xe38f
	s_waitcnt vmcnt(1) lgkmcnt(0)
	v_mul_f64 v[34:35], v[20:21], v[18:19]
	v_mul_f64 v[18:19], v[3:4], v[18:19]
	v_fma_f64 v[40:41], v[3:4], v[16:17], v[34:35]
	v_fma_f64 v[20:21], v[20:21], v[16:17], -v[18:19]
	global_load_dwordx4 v[16:19], v42, s[12:13]
	global_load_dwordx4 v[34:37], v42, s[12:13] offset:16
	s_waitcnt vmcnt(1)
	v_mul_f64 v[3:4], v[22:23], v[18:19]
	v_fma_f64 v[42:43], v[5:6], v[16:17], v[3:4]
	v_mul_f64 v[3:4], v[5:6], v[18:19]
	v_fma_f64 v[4:5], v[22:23], v[16:17], -v[3:4]
	ds_read2_b64 v[16:19], v2 offset0:12 offset1:255
	v_mov_b32_e32 v3, 3
	s_waitcnt lgkmcnt(0)
	v_mul_f64 v[22:23], v[16:17], v[32:33]
	s_waitcnt vmcnt(0)
	v_mul_f64 v[44:45], v[18:19], v[36:37]
	v_fma_f64 v[22:23], v[7:8], v[30:31], v[22:23]
	v_fma_f64 v[44:45], v[9:10], v[34:35], v[44:45]
	v_mul_f64 v[6:7], v[7:8], v[32:33]
	v_mul_f64 v[8:9], v[9:10], v[36:37]
	v_mul_u32_u24_e32 v10, 0x90, v13
	v_lshlrev_b32_sdwa v13, v3, v46 dst_sel:DWORD dst_unused:UNUSED_PAD src0_sel:DWORD src1_sel:BYTE_0
	v_add3_u32 v46, 0, v10, v13
	v_mul_u32_u24_e32 v10, 0x90, v48
	v_lshlrev_b32_e32 v13, 3, v49
	v_add3_u32 v48, 0, v10, v13
	v_fma_f64 v[6:7], v[16:17], v[30:31], -v[6:7]
	v_fma_f64 v[8:9], v[18:19], v[34:35], -v[8:9]
	v_add_f64 v[16:17], v[40:41], v[22:23]
	v_add_f64 v[18:19], v[11:12], v[40:41]
	;; [unrolled: 1-line block ×3, first 2 shown]
	ds_read_b64 v[30:31], v0
	ds_read_b64 v[32:33], v14
	v_add_f64 v[36:37], v[38:39], v[42:43]
	v_add_f64 v[40:41], v[40:41], -v[22:23]
	s_waitcnt lgkmcnt(0)
	s_barrier
	v_fma_f64 v[10:11], v[16:17], -0.5, v[11:12]
	v_add_f64 v[16:17], v[18:19], v[22:23]
	v_add_f64 v[18:19], v[20:21], v[6:7]
	;; [unrolled: 1-line block ×3, first 2 shown]
	v_fma_f64 v[34:35], v[34:35], -0.5, v[38:39]
	v_add_f64 v[38:39], v[4:5], v[8:9]
	v_add_f64 v[22:23], v[42:43], -v[44:45]
	v_add_f64 v[42:43], v[32:33], v[4:5]
	v_add_f64 v[20:21], v[20:21], -v[6:7]
	v_add_f64 v[4:5], v[4:5], -v[8:9]
	v_fma_f64 v[18:19], v[18:19], -0.5, v[30:31]
	v_add_f64 v[12:13], v[12:13], v[6:7]
	v_add_f64 v[36:37], v[36:37], v[44:45]
	v_fma_f64 v[6:7], v[38:39], -0.5, v[32:33]
	v_add_f64 v[30:31], v[42:43], v[8:9]
	v_fma_f64 v[8:9], v[20:21], s[4:5], v[10:11]
	v_fma_f64 v[10:11], v[20:21], s[6:7], v[10:11]
	;; [unrolled: 1-line block ×8, first 2 shown]
	ds_write2_b64 v46, v[16:17], v[8:9] offset1:6
	ds_write_b64 v46, v[10:11] offset:96
	ds_write2_b64 v48, v[36:37], v[20:21] offset1:6
	ds_write_b64 v48, v[4:5] offset:96
	s_waitcnt lgkmcnt(0)
	s_barrier
	ds_read_b64 v[38:39], v0
	ds_read_b64 v[40:41], v14
	ds_read2_b64 v[4:7], v1 offset0:6 offset1:249
	ds_read2_b64 v[8:11], v2 offset0:12 offset1:255
	s_waitcnt lgkmcnt(0)
	s_barrier
	ds_write2_b64 v46, v[12:13], v[32:33] offset1:6
	ds_write_b64 v46, v[18:19] offset:96
	ds_write2_b64 v48, v[30:31], v[34:35] offset1:6
	ds_write_b64 v48, v[22:23] offset:96
	v_mov_b32_e32 v12, 57
	v_mul_lo_u16_sdwa v12, v28, v12 dst_sel:DWORD dst_unused:UNUSED_PAD src0_sel:BYTE_0 src1_sel:DWORD
	v_lshrrev_b16_e32 v44, 10, v12
	v_mul_lo_u16_e32 v12, 18, v44
	v_sub_u16_e32 v45, v28, v12
	v_lshlrev_b32_sdwa v12, v47, v45 dst_sel:DWORD dst_unused:UNUSED_PAD src0_sel:DWORD src1_sel:BYTE_0
	s_waitcnt lgkmcnt(0)
	s_barrier
	global_load_dwordx4 v[16:19], v12, s[12:13] offset:192
	global_load_dwordx4 v[30:33], v12, s[12:13] offset:208
	ds_read2_b64 v[20:23], v1 offset0:6 offset1:249
	v_mul_u32_u24_sdwa v34, v29, s0 dst_sel:DWORD dst_unused:UNUSED_PAD src0_sel:WORD_0 src1_sel:DWORD
	v_lshrrev_b32_e32 v46, 20, v34
	v_mul_lo_u16_e32 v34, 18, v46
	v_sub_u16_e32 v48, v29, v34
	v_lshlrev_b32_e32 v42, 5, v48
	s_movk_i32 s0, 0xa2
	v_cmp_gt_u32_e64 s[0:1], s0, v28
	s_waitcnt vmcnt(1) lgkmcnt(0)
	v_mul_f64 v[12:13], v[20:21], v[18:19]
	v_mul_f64 v[18:19], v[4:5], v[18:19]
	v_fma_f64 v[12:13], v[4:5], v[16:17], v[12:13]
	v_fma_f64 v[20:21], v[20:21], v[16:17], -v[18:19]
	global_load_dwordx4 v[16:19], v42, s[12:13] offset:192
	global_load_dwordx4 v[34:37], v42, s[12:13] offset:208
	s_waitcnt vmcnt(1)
	v_mul_f64 v[4:5], v[22:23], v[18:19]
	v_fma_f64 v[42:43], v[6:7], v[16:17], v[4:5]
	v_mul_f64 v[4:5], v[6:7], v[18:19]
	v_fma_f64 v[16:17], v[22:23], v[16:17], -v[4:5]
	ds_read2_b64 v[4:7], v2 offset0:12 offset1:255
	v_mov_b32_e32 v22, 19
	v_mul_lo_u16_sdwa v22, v28, v22 dst_sel:DWORD dst_unused:UNUSED_PAD src0_sel:BYTE_0 src1_sel:DWORD
	v_lshrrev_b16_e32 v49, 10, v22
	v_mul_lo_u16_e32 v23, 54, v49
	s_waitcnt lgkmcnt(0)
	v_mul_f64 v[18:19], v[4:5], v[32:33]
	v_mul_u32_u24_e32 v22, 0x1b0, v44
	v_sub_u16_e32 v44, v28, v23
	v_lshlrev_b32_sdwa v23, v3, v45 dst_sel:DWORD dst_unused:UNUSED_PAD src0_sel:DWORD src1_sel:BYTE_0
	v_add3_u32 v45, 0, v22, v23
	v_lshlrev_b32_sdwa v3, v3, v44 dst_sel:DWORD dst_unused:UNUSED_PAD src0_sel:DWORD src1_sel:BYTE_0
	v_fma_f64 v[18:19], v[8:9], v[30:31], v[18:19]
	v_mul_f64 v[8:9], v[8:9], v[32:33]
	v_add_f64 v[32:33], v[40:41], v[42:43]
	v_add_f64 v[22:23], v[12:13], v[18:19]
	v_fma_f64 v[4:5], v[4:5], v[30:31], -v[8:9]
	s_waitcnt vmcnt(0)
	v_mul_f64 v[8:9], v[6:7], v[36:37]
	v_mul_u32_u24_e32 v30, 0x1b0, v46
	v_lshlrev_b32_e32 v31, 3, v48
	v_lshlrev_b32_sdwa v46, v47, v44 dst_sel:DWORD dst_unused:UNUSED_PAD src0_sel:DWORD src1_sel:BYTE_0
	v_add3_u32 v47, 0, v30, v31
	v_fma_f64 v[22:23], v[22:23], -0.5, v[38:39]
	v_fma_f64 v[8:9], v[10:11], v[34:35], v[8:9]
	v_mul_f64 v[10:11], v[10:11], v[36:37]
	v_add_f64 v[36:37], v[20:21], v[4:5]
	v_add_f64 v[30:31], v[42:43], v[8:9]
	v_fma_f64 v[6:7], v[6:7], v[34:35], -v[10:11]
	v_add_f64 v[10:11], v[38:39], v[12:13]
	ds_read_b64 v[34:35], v0
	v_add_f64 v[12:13], v[12:13], -v[18:19]
	v_fma_f64 v[30:31], v[30:31], -0.5, v[40:41]
	v_add_f64 v[40:41], v[42:43], -v[8:9]
	v_add_f64 v[10:11], v[10:11], v[18:19]
	ds_read_b64 v[18:19], v14
	s_waitcnt lgkmcnt(1)
	v_add_f64 v[38:39], v[34:35], v[20:21]
	v_add_f64 v[8:9], v[32:33], v[8:9]
	;; [unrolled: 1-line block ×3, first 2 shown]
	v_fma_f64 v[34:35], v[36:37], -0.5, v[34:35]
	s_waitcnt lgkmcnt(0)
	v_add_f64 v[36:37], v[18:19], v[16:17]
	v_add_f64 v[20:21], v[20:21], -v[4:5]
	v_add_f64 v[16:17], v[16:17], -v[6:7]
	v_add_f64 v[38:39], v[38:39], v[4:5]
	s_barrier
	v_fma_f64 v[4:5], v[32:33], -0.5, v[18:19]
	v_add_f64 v[18:19], v[36:37], v[6:7]
	v_fma_f64 v[6:7], v[20:21], s[4:5], v[22:23]
	v_fma_f64 v[20:21], v[20:21], s[6:7], v[22:23]
	;; [unrolled: 1-line block ×8, first 2 shown]
	ds_write2_b64 v45, v[10:11], v[6:7] offset1:18
	ds_write_b64 v45, v[20:21] offset:288
	ds_write2_b64 v47, v[8:9], v[22:23] offset1:18
	ds_write_b64 v47, v[16:17] offset:288
	s_waitcnt lgkmcnt(0)
	s_barrier
	ds_read_b64 v[40:41], v0
	ds_read_b64 v[42:43], v14
	ds_read2_b64 v[4:7], v1 offset0:6 offset1:249
	ds_read2_b64 v[8:11], v2 offset0:12 offset1:255
	s_waitcnt lgkmcnt(0)
	s_barrier
	ds_write2_b64 v45, v[38:39], v[30:31] offset1:18
	ds_write_b64 v45, v[12:13] offset:288
	ds_write2_b64 v47, v[18:19], v[32:33] offset1:18
	ds_write_b64 v47, v[34:35] offset:288
	s_waitcnt lgkmcnt(0)
	s_barrier
	global_load_dwordx4 v[16:19], v46, s[12:13] offset:768
	global_load_dwordx4 v[30:33], v46, s[12:13] offset:784
	ds_read2_b64 v[20:23], v1 offset0:6 offset1:249
	v_lshrrev_b16_e32 v34, 1, v29
	v_mul_u32_u24_e32 v34, 0x97b5, v34
	v_lshrrev_b32_e32 v45, 20, v34
	v_mul_lo_u16_e32 v34, 54, v45
	v_sub_u16_e32 v46, v29, v34
	v_lshlrev_b32_e32 v38, 5, v46
	s_waitcnt vmcnt(1) lgkmcnt(0)
	v_mul_f64 v[12:13], v[20:21], v[18:19]
	v_mul_f64 v[18:19], v[4:5], v[18:19]
	v_fma_f64 v[12:13], v[4:5], v[16:17], v[12:13]
	v_fma_f64 v[20:21], v[20:21], v[16:17], -v[18:19]
	global_load_dwordx4 v[16:19], v38, s[12:13] offset:768
	global_load_dwordx4 v[34:37], v38, s[12:13] offset:784
	s_waitcnt vmcnt(1)
	v_mul_f64 v[4:5], v[22:23], v[18:19]
	v_fma_f64 v[38:39], v[6:7], v[16:17], v[4:5]
	v_mul_f64 v[4:5], v[6:7], v[18:19]
	v_fma_f64 v[16:17], v[22:23], v[16:17], -v[4:5]
	ds_read2_b64 v[4:7], v2 offset0:12 offset1:255
	v_mul_f64 v[22:23], v[8:9], v[32:33]
	s_waitcnt lgkmcnt(0)
	v_mul_f64 v[18:19], v[4:5], v[32:33]
	v_mov_b32_e32 v33, s13
	v_fma_f64 v[4:5], v[4:5], v[30:31], -v[22:23]
	v_fma_f64 v[18:19], v[8:9], v[30:31], v[18:19]
	s_waitcnt vmcnt(0)
	v_mul_f64 v[8:9], v[6:7], v[36:37]
	v_add_u32_e32 v30, 0xffffff5e, v28
	v_cndmask_b32_e64 v47, v30, v28, s[0:1]
	v_add_f64 v[30:31], v[12:13], v[18:19]
	v_fma_f64 v[22:23], v[10:11], v[34:35], v[8:9]
	v_mul_f64 v[10:11], v[10:11], v[36:37]
	v_mov_b32_e32 v9, 0
	v_lshlrev_b32_e32 v8, 1, v47
	v_mul_u32_u24_e32 v36, 0x510, v49
	v_mul_u32_u24_e32 v37, 0x510, v45
	v_add_f64 v[44:45], v[20:21], v[4:5]
	v_fma_f64 v[30:31], v[30:31], -0.5, v[40:41]
	v_fma_f64 v[6:7], v[6:7], v[34:35], -v[10:11]
	v_lshlrev_b64 v[10:11], 4, v[8:9]
	v_lshlrev_b32_e32 v8, 3, v46
	v_add_co_u32_e64 v32, s[0:1], s12, v10
	v_addc_co_u32_e64 v33, s[0:1], v33, v11, s[0:1]
	v_add3_u32 v46, 0, v36, v3
	v_add_f64 v[10:11], v[40:41], v[12:13]
	v_add3_u32 v48, 0, v37, v8
	v_add_f64 v[34:35], v[38:39], v[22:23]
	v_add_f64 v[36:37], v[42:43], v[38:39]
	ds_read_b64 v[40:41], v0
	v_add_f64 v[12:13], v[12:13], -v[18:19]
	v_add_f64 v[38:39], v[38:39], -v[22:23]
	s_movk_i32 s0, 0x6523
	v_add_f64 v[10:11], v[10:11], v[18:19]
	ds_read_b64 v[18:19], v14
	v_fma_f64 v[34:35], v[34:35], -0.5, v[42:43]
	s_waitcnt lgkmcnt(1)
	v_add_f64 v[42:43], v[40:41], v[20:21]
	v_add_f64 v[22:23], v[36:37], v[22:23]
	;; [unrolled: 1-line block ×3, first 2 shown]
	v_fma_f64 v[40:41], v[44:45], -0.5, v[40:41]
	s_waitcnt lgkmcnt(0)
	v_add_f64 v[44:45], v[18:19], v[16:17]
	v_add_f64 v[20:21], v[20:21], -v[4:5]
	v_add_f64 v[16:17], v[16:17], -v[6:7]
	v_add_f64 v[42:43], v[42:43], v[4:5]
	s_barrier
	v_fma_f64 v[3:4], v[36:37], -0.5, v[18:19]
	v_add_f64 v[7:8], v[44:45], v[6:7]
	v_fma_f64 v[5:6], v[20:21], s[4:5], v[30:31]
	v_fma_f64 v[18:19], v[20:21], s[6:7], v[30:31]
	;; [unrolled: 1-line block ×8, first 2 shown]
	ds_write2_b64 v46, v[10:11], v[5:6] offset1:54
	ds_write_b64 v46, v[18:19] offset:864
	ds_write2_b64 v48, v[22:23], v[20:21] offset1:54
	ds_write_b64 v48, v[16:17] offset:864
	s_waitcnt lgkmcnt(0)
	s_barrier
	ds_read_b64 v[40:41], v0
	ds_read_b64 v[44:45], v14
	ds_read2_b64 v[3:6], v1 offset0:6 offset1:249
	ds_read2_b64 v[10:13], v2 offset0:12 offset1:255
	s_waitcnt lgkmcnt(0)
	s_barrier
	ds_write2_b64 v46, v[42:43], v[30:31] offset1:54
	ds_write_b64 v46, v[34:35] offset:864
	ds_write2_b64 v48, v[7:8], v[36:37] offset1:54
	ds_write_b64 v48, v[38:39] offset:864
	s_waitcnt lgkmcnt(0)
	s_barrier
	global_load_dwordx4 v[16:19], v[32:33], off offset:2496
	ds_read2_b64 v[20:23], v1 offset0:6 offset1:249
	v_mul_u32_u24_sdwa v34, v29, s0 dst_sel:DWORD dst_unused:UNUSED_PAD src0_sel:WORD_0 src1_sel:DWORD
	v_lshrrev_b32_e32 v42, 22, v34
	v_mul_lo_u16_e32 v34, 0xa2, v42
	v_sub_u16_e32 v43, v29, v34
	v_lshlrev_b32_e32 v38, 5, v43
	global_load_dwordx4 v[30:33], v[32:33], off offset:2512
	s_movk_i32 s0, 0xa1
	v_cmp_lt_u32_e64 s[0:1], s0, v28
	s_waitcnt vmcnt(1) lgkmcnt(0)
	v_mul_f64 v[7:8], v[20:21], v[18:19]
	v_mul_f64 v[18:19], v[3:4], v[18:19]
	v_fma_f64 v[7:8], v[3:4], v[16:17], v[7:8]
	v_fma_f64 v[20:21], v[20:21], v[16:17], -v[18:19]
	global_load_dwordx4 v[16:19], v38, s[12:13] offset:2496
	global_load_dwordx4 v[34:37], v38, s[12:13] offset:2512
	s_waitcnt vmcnt(1)
	v_mul_f64 v[3:4], v[22:23], v[18:19]
	v_fma_f64 v[38:39], v[5:6], v[16:17], v[3:4]
	v_mul_f64 v[3:4], v[5:6], v[18:19]
	v_fma_f64 v[16:17], v[22:23], v[16:17], -v[3:4]
	ds_read2_b64 v[3:6], v2 offset0:12 offset1:255
	s_waitcnt lgkmcnt(0)
	v_mul_f64 v[18:19], v[3:4], v[32:33]
	s_waitcnt vmcnt(0)
	v_mul_f64 v[22:23], v[5:6], v[36:37]
	v_fma_f64 v[18:19], v[10:11], v[30:31], v[18:19]
	v_fma_f64 v[22:23], v[12:13], v[34:35], v[22:23]
	v_mul_f64 v[10:11], v[10:11], v[32:33]
	v_mul_f64 v[12:13], v[12:13], v[36:37]
	v_mov_b32_e32 v32, 0xf30
	v_add_f64 v[36:37], v[44:45], v[38:39]
	v_cndmask_b32_e64 v32, 0, v32, s[0:1]
	v_lshlrev_b32_e32 v33, 3, v47
	v_add3_u32 v46, 0, v32, v33
	v_mul_u32_u24_e32 v32, 0xf30, v42
	v_fma_f64 v[3:4], v[3:4], v[30:31], -v[10:11]
	v_fma_f64 v[5:6], v[5:6], v[34:35], -v[12:13]
	v_add_f64 v[12:13], v[40:41], v[7:8]
	v_add_f64 v[10:11], v[7:8], v[18:19]
	v_lshlrev_b32_e32 v33, 3, v43
	v_add_f64 v[34:35], v[38:39], v[22:23]
	v_add3_u32 v47, 0, v32, v33
	ds_read_b64 v[30:31], v0
	ds_read_b64 v[32:33], v14
	v_add_f64 v[7:8], v[7:8], -v[18:19]
	v_add_f64 v[38:39], v[38:39], -v[22:23]
	v_add_f64 v[12:13], v[12:13], v[18:19]
	v_add_f64 v[18:19], v[20:21], v[3:4]
	v_fma_f64 v[10:11], v[10:11], -0.5, v[40:41]
	s_waitcnt lgkmcnt(1)
	v_add_f64 v[40:41], v[30:31], v[20:21]
	v_add_f64 v[42:43], v[16:17], v[5:6]
	;; [unrolled: 1-line block ×3, first 2 shown]
	s_waitcnt lgkmcnt(0)
	v_add_f64 v[36:37], v[32:33], v[16:17]
	v_add_f64 v[20:21], v[20:21], -v[3:4]
	v_fma_f64 v[34:35], v[34:35], -0.5, v[44:45]
	v_add_f64 v[16:17], v[16:17], -v[5:6]
	v_fma_f64 v[18:19], v[18:19], -0.5, v[30:31]
	v_add_f64 v[30:31], v[40:41], v[3:4]
	v_fma_f64 v[3:4], v[42:43], -0.5, v[32:33]
	v_add_f64 v[32:33], v[36:37], v[5:6]
	v_fma_f64 v[5:6], v[20:21], s[4:5], v[10:11]
	v_fma_f64 v[10:11], v[20:21], s[6:7], v[10:11]
	;; [unrolled: 1-line block ×5, first 2 shown]
	s_barrier
	v_fma_f64 v[18:19], v[7:8], s[4:5], v[18:19]
	v_fma_f64 v[36:37], v[38:39], s[6:7], v[3:4]
	;; [unrolled: 1-line block ×3, first 2 shown]
	ds_write2_b64 v46, v[12:13], v[5:6] offset1:162
	ds_write_b64 v46, v[10:11] offset:2592
	ds_write2_b64 v47, v[22:23], v[20:21] offset1:162
	ds_write_b64 v47, v[16:17] offset:2592
	s_waitcnt lgkmcnt(0)
	s_barrier
	ds_read_b64 v[10:11], v0
	ds_read_b64 v[12:13], v14
	ds_read2_b64 v[4:7], v1 offset0:6 offset1:249
	ds_read2_b64 v[0:3], v2 offset0:12 offset1:255
	s_movk_i32 s0, 0x1e00
	s_waitcnt lgkmcnt(0)
	s_barrier
	ds_write2_b64 v46, v[30:31], v[34:35] offset1:162
	ds_write_b64 v46, v[18:19] offset:2592
	ds_write2_b64 v47, v[32:33], v[36:37] offset1:162
	ds_write_b64 v47, v[38:39] offset:2592
	s_waitcnt lgkmcnt(0)
	s_barrier
	s_and_saveexec_b64 s[14:15], vcc
	s_cbranch_execz .LBB0_15
; %bb.14:
	v_lshlrev_b32_e32 v8, 1, v29
	v_lshlrev_b64 v[16:17], 4, v[8:9]
	v_mov_b32_e32 v18, s13
	v_add_co_u32_e32 v16, vcc, s12, v16
	v_addc_co_u32_e32 v17, vcc, v18, v17, vcc
	s_movk_i32 s1, 0x1000
	v_lshlrev_b32_e32 v8, 1, v28
	v_add_co_u32_e32 v29, vcc, s1, v16
	v_lshlrev_b64 v[8:9], 4, v[8:9]
	v_addc_co_u32_e32 v30, vcc, 0, v17, vcc
	v_add_co_u32_e32 v33, vcc, s12, v8
	v_addc_co_u32_e32 v34, vcc, v18, v9, vcc
	v_add_co_u32_e32 v8, vcc, s0, v16
	v_addc_co_u32_e32 v9, vcc, 0, v17, vcc
	global_load_dwordx4 v[16:19], v[29:30], off offset:3584
	global_load_dwordx4 v[20:23], v[8:9], off offset:16
	v_add_co_u32_e32 v8, vcc, s1, v33
	v_addc_co_u32_e32 v9, vcc, 0, v34, vcc
	global_load_dwordx4 v[29:32], v[8:9], off offset:3584
	v_add_co_u32_e32 v8, vcc, s0, v33
	v_addc_co_u32_e32 v9, vcc, 0, v34, vcc
	global_load_dwordx4 v[33:36], v[8:9], off offset:16
	v_mul_i32_i24_e32 v37, 0xffffffd8, v28
	v_mul_lo_u32 v43, s9, v26
	v_mul_lo_u32 v44, s8, v27
	v_mad_u64_u32 v[8:9], s[0:1], s8, v26, 0
	v_add_u32_e32 v50, v15, v37
	s_mov_b32 s8, 0x86d90545
	v_lshlrev_b64 v[41:42], 4, v[24:25]
	v_add_u32_e32 v24, 0xf00, v50
	v_add_u32_e32 v37, 0x1e00, v50
	v_mul_hi_u32 v15, v28, s8
	ds_read2_b64 v[24:27], v24 offset0:6 offset1:249
	ds_read2_b64 v[37:40], v37 offset0:12 offset1:255
	v_add3_u32 v9, v9, v44, v43
	v_lshlrev_b64 v[8:9], 4, v[8:9]
	v_mov_b32_e32 v45, s11
	v_lshrrev_b32_e32 v15, 8, v15
	v_add_co_u32_e32 v8, vcc, s10, v8
	v_mul_u32_u24_e32 v15, 0x1e6, v15
	v_addc_co_u32_e32 v9, vcc, v45, v9, vcc
	v_sub_u32_e32 v52, v28, v15
	v_add_co_u32_e32 v53, vcc, v8, v41
	v_addc_co_u32_e32 v54, vcc, v9, v42, vcc
	v_mad_u64_u32 v[8:9], s[0:1], s2, v52, 0
	v_add_u32_e32 v55, 0x1e6, v52
	v_mad_u64_u32 v[41:42], s[0:1], s2, v55, 0
	v_mad_u64_u32 v[47:48], s[0:1], s3, v52, v[9:10]
	v_mov_b32_e32 v9, v47
	s_waitcnt vmcnt(3)
	v_mul_f64 v[43:44], v[6:7], v[18:19]
	s_waitcnt lgkmcnt(1)
	v_mul_f64 v[18:19], v[26:27], v[18:19]
	s_waitcnt vmcnt(2)
	v_mul_f64 v[45:46], v[2:3], v[22:23]
	s_waitcnt lgkmcnt(0)
	v_mul_f64 v[22:23], v[39:40], v[22:23]
	s_waitcnt vmcnt(1)
	v_mul_f64 v[48:49], v[4:5], v[31:32]
	v_fma_f64 v[26:27], v[26:27], v[16:17], -v[43:44]
	v_fma_f64 v[6:7], v[6:7], v[16:17], v[18:19]
	v_mul_f64 v[15:16], v[24:25], v[31:32]
	s_waitcnt vmcnt(0)
	v_mul_f64 v[17:18], v[0:1], v[35:36]
	v_fma_f64 v[31:32], v[39:40], v[20:21], -v[45:46]
	v_fma_f64 v[19:20], v[2:3], v[20:21], v[22:23]
	v_mul_f64 v[2:3], v[37:38], v[35:36]
	v_mov_b32_e32 v39, v42
	v_lshlrev_b64 v[42:43], 4, v[8:9]
	v_fma_f64 v[8:9], v[24:25], v[29:30], -v[48:49]
	v_fma_f64 v[4:5], v[4:5], v[29:30], v[15:16]
	ds_read_b64 v[21:22], v14
	ds_read_b64 v[35:36], v50
	v_fma_f64 v[14:15], v[37:38], v[33:34], -v[17:18]
	v_add_f64 v[23:24], v[12:13], v[6:7]
	v_fma_f64 v[16:17], v[0:1], v[33:34], v[2:3]
	v_add_f64 v[2:3], v[26:27], v[31:32]
	v_add_f64 v[29:30], v[6:7], -v[19:20]
	v_add_f64 v[6:7], v[6:7], v[19:20]
	s_waitcnt lgkmcnt(0)
	v_add_f64 v[37:38], v[35:36], v[8:9]
	v_add_f64 v[46:47], v[10:11], v[4:5]
	;; [unrolled: 1-line block ×3, first 2 shown]
	v_add_f64 v[25:26], v[26:27], -v[31:32]
	v_add_f64 v[33:34], v[8:9], v[14:15]
	v_add_f64 v[44:45], v[4:5], v[16:17]
	v_add_f64 v[50:51], v[8:9], -v[14:15]
	v_fma_f64 v[8:9], v[2:3], -0.5, v[21:22]
	v_fma_f64 v[12:13], v[6:7], -0.5, v[12:13]
	v_add_f64 v[48:49], v[4:5], -v[16:17]
	v_add_f64 v[6:7], v[37:38], v[14:15]
	v_add_f64 v[4:5], v[46:47], v[16:17]
	;; [unrolled: 1-line block ×4, first 2 shown]
	v_fma_f64 v[31:32], v[44:45], -0.5, v[10:11]
	v_fma_f64 v[10:11], v[29:30], s[4:5], v[8:9]
	v_fma_f64 v[14:15], v[29:30], s[6:7], v[8:9]
	;; [unrolled: 1-line block ×4, first 2 shown]
	v_mad_u64_u32 v[24:25], s[0:1], s3, v55, v[39:40]
	v_fma_f64 v[20:21], v[33:34], -0.5, v[35:36]
	v_add_co_u32_e32 v25, vcc, v53, v42
	v_addc_co_u32_e32 v26, vcc, v54, v43, vcc
	global_store_dwordx4 v[25:26], v[4:7], off
	v_mov_b32_e32 v42, v24
	v_add_u32_e32 v24, 0x3cc, v52
	v_add_u32_e32 v26, 0xf3, v28
	v_mad_u64_u32 v[6:7], s[0:1], s2, v24, 0
	v_mul_hi_u32 v27, v26, s8
	v_fma_f64 v[18:19], v[48:49], s[4:5], v[20:21]
	v_fma_f64 v[22:23], v[48:49], s[6:7], v[20:21]
	;; [unrolled: 1-line block ×3, first 2 shown]
	v_mad_u64_u32 v[24:25], s[0:1], s3, v24, v[7:8]
	v_lshrrev_b32_e32 v7, 8, v27
	v_mul_u32_u24_e32 v25, 0x1e6, v7
	v_sub_u32_e32 v25, v26, v25
	s_movk_i32 s0, 0x5b2
	v_mad_u32_u24 v27, v7, s0, v25
	v_fma_f64 v[16:17], v[50:51], s[6:7], v[31:32]
	v_lshlrev_b64 v[4:5], 4, v[41:42]
	v_mad_u64_u32 v[25:26], s[0:1], s2, v27, 0
	v_add_co_u32_e32 v4, vcc, v53, v4
	v_addc_co_u32_e32 v5, vcc, v54, v5, vcc
	v_mov_b32_e32 v7, v24
	global_store_dwordx4 v[4:5], v[20:23], off
	v_lshlrev_b64 v[4:5], 4, v[6:7]
	v_mov_b32_e32 v6, v26
	v_mad_u64_u32 v[6:7], s[0:1], s3, v27, v[6:7]
	v_add_co_u32_e32 v4, vcc, v53, v4
	v_addc_co_u32_e32 v5, vcc, v54, v5, vcc
	global_store_dwordx4 v[4:5], v[16:19], off
	v_mov_b32_e32 v26, v6
	v_add_u32_e32 v16, 0x1e6, v27
	v_mad_u64_u32 v[6:7], s[0:1], s2, v16, 0
	v_add_u32_e32 v19, 0x3cc, v27
	v_lshlrev_b64 v[4:5], 4, v[25:26]
	v_mad_u64_u32 v[16:17], s[0:1], s3, v16, v[7:8]
	v_mad_u64_u32 v[17:18], s[0:1], s2, v19, 0
	v_add_co_u32_e32 v4, vcc, v53, v4
	v_addc_co_u32_e32 v5, vcc, v54, v5, vcc
	global_store_dwordx4 v[4:5], v[0:3], off
	v_mov_b32_e32 v7, v16
	v_mov_b32_e32 v2, v18
	v_mad_u64_u32 v[2:3], s[0:1], s3, v19, v[2:3]
	v_lshlrev_b64 v[0:1], 4, v[6:7]
	v_add_co_u32_e32 v0, vcc, v53, v0
	v_addc_co_u32_e32 v1, vcc, v54, v1, vcc
	v_mov_b32_e32 v18, v2
	global_store_dwordx4 v[0:1], v[12:15], off
	v_lshlrev_b64 v[0:1], 4, v[17:18]
	v_add_co_u32_e32 v0, vcc, v53, v0
	v_addc_co_u32_e32 v1, vcc, v54, v1, vcc
	global_store_dwordx4 v[0:1], v[8:11], off
.LBB0_15:
	s_endpgm
	.section	.rodata,"a",@progbits
	.p2align	6, 0x0
	.amdhsa_kernel fft_rtc_back_len1458_factors_6_3_3_3_3_3_wgs_243_tpt_243_halfLds_dp_op_CI_CI_sbrr_dirReg
		.amdhsa_group_segment_fixed_size 0
		.amdhsa_private_segment_fixed_size 0
		.amdhsa_kernarg_size 104
		.amdhsa_user_sgpr_count 6
		.amdhsa_user_sgpr_private_segment_buffer 1
		.amdhsa_user_sgpr_dispatch_ptr 0
		.amdhsa_user_sgpr_queue_ptr 0
		.amdhsa_user_sgpr_kernarg_segment_ptr 1
		.amdhsa_user_sgpr_dispatch_id 0
		.amdhsa_user_sgpr_flat_scratch_init 0
		.amdhsa_user_sgpr_private_segment_size 0
		.amdhsa_uses_dynamic_stack 0
		.amdhsa_system_sgpr_private_segment_wavefront_offset 0
		.amdhsa_system_sgpr_workgroup_id_x 1
		.amdhsa_system_sgpr_workgroup_id_y 0
		.amdhsa_system_sgpr_workgroup_id_z 0
		.amdhsa_system_sgpr_workgroup_info 0
		.amdhsa_system_vgpr_workitem_id 0
		.amdhsa_next_free_vgpr 56
		.amdhsa_next_free_sgpr 32
		.amdhsa_reserve_vcc 1
		.amdhsa_reserve_flat_scratch 0
		.amdhsa_float_round_mode_32 0
		.amdhsa_float_round_mode_16_64 0
		.amdhsa_float_denorm_mode_32 3
		.amdhsa_float_denorm_mode_16_64 3
		.amdhsa_dx10_clamp 1
		.amdhsa_ieee_mode 1
		.amdhsa_fp16_overflow 0
		.amdhsa_exception_fp_ieee_invalid_op 0
		.amdhsa_exception_fp_denorm_src 0
		.amdhsa_exception_fp_ieee_div_zero 0
		.amdhsa_exception_fp_ieee_overflow 0
		.amdhsa_exception_fp_ieee_underflow 0
		.amdhsa_exception_fp_ieee_inexact 0
		.amdhsa_exception_int_div_zero 0
	.end_amdhsa_kernel
	.text
.Lfunc_end0:
	.size	fft_rtc_back_len1458_factors_6_3_3_3_3_3_wgs_243_tpt_243_halfLds_dp_op_CI_CI_sbrr_dirReg, .Lfunc_end0-fft_rtc_back_len1458_factors_6_3_3_3_3_3_wgs_243_tpt_243_halfLds_dp_op_CI_CI_sbrr_dirReg
                                        ; -- End function
	.section	.AMDGPU.csdata,"",@progbits
; Kernel info:
; codeLenInByte = 6028
; NumSgprs: 36
; NumVgprs: 56
; ScratchSize: 0
; MemoryBound: 1
; FloatMode: 240
; IeeeMode: 1
; LDSByteSize: 0 bytes/workgroup (compile time only)
; SGPRBlocks: 4
; VGPRBlocks: 13
; NumSGPRsForWavesPerEU: 36
; NumVGPRsForWavesPerEU: 56
; Occupancy: 4
; WaveLimiterHint : 1
; COMPUTE_PGM_RSRC2:SCRATCH_EN: 0
; COMPUTE_PGM_RSRC2:USER_SGPR: 6
; COMPUTE_PGM_RSRC2:TRAP_HANDLER: 0
; COMPUTE_PGM_RSRC2:TGID_X_EN: 1
; COMPUTE_PGM_RSRC2:TGID_Y_EN: 0
; COMPUTE_PGM_RSRC2:TGID_Z_EN: 0
; COMPUTE_PGM_RSRC2:TIDIG_COMP_CNT: 0
	.type	__hip_cuid_42f4721171549b09,@object ; @__hip_cuid_42f4721171549b09
	.section	.bss,"aw",@nobits
	.globl	__hip_cuid_42f4721171549b09
__hip_cuid_42f4721171549b09:
	.byte	0                               ; 0x0
	.size	__hip_cuid_42f4721171549b09, 1

	.ident	"AMD clang version 19.0.0git (https://github.com/RadeonOpenCompute/llvm-project roc-6.4.0 25133 c7fe45cf4b819c5991fe208aaa96edf142730f1d)"
	.section	".note.GNU-stack","",@progbits
	.addrsig
	.addrsig_sym __hip_cuid_42f4721171549b09
	.amdgpu_metadata
---
amdhsa.kernels:
  - .args:
      - .actual_access:  read_only
        .address_space:  global
        .offset:         0
        .size:           8
        .value_kind:     global_buffer
      - .offset:         8
        .size:           8
        .value_kind:     by_value
      - .actual_access:  read_only
        .address_space:  global
        .offset:         16
        .size:           8
        .value_kind:     global_buffer
      - .actual_access:  read_only
        .address_space:  global
        .offset:         24
        .size:           8
        .value_kind:     global_buffer
      - .actual_access:  read_only
        .address_space:  global
        .offset:         32
        .size:           8
        .value_kind:     global_buffer
      - .offset:         40
        .size:           8
        .value_kind:     by_value
      - .actual_access:  read_only
        .address_space:  global
        .offset:         48
        .size:           8
        .value_kind:     global_buffer
      - .actual_access:  read_only
        .address_space:  global
        .offset:         56
        .size:           8
        .value_kind:     global_buffer
      - .offset:         64
        .size:           4
        .value_kind:     by_value
      - .actual_access:  read_only
        .address_space:  global
        .offset:         72
        .size:           8
        .value_kind:     global_buffer
      - .actual_access:  read_only
        .address_space:  global
        .offset:         80
        .size:           8
        .value_kind:     global_buffer
      - .actual_access:  read_only
        .address_space:  global
        .offset:         88
        .size:           8
        .value_kind:     global_buffer
      - .actual_access:  write_only
        .address_space:  global
        .offset:         96
        .size:           8
        .value_kind:     global_buffer
    .group_segment_fixed_size: 0
    .kernarg_segment_align: 8
    .kernarg_segment_size: 104
    .language:       OpenCL C
    .language_version:
      - 2
      - 0
    .max_flat_workgroup_size: 243
    .name:           fft_rtc_back_len1458_factors_6_3_3_3_3_3_wgs_243_tpt_243_halfLds_dp_op_CI_CI_sbrr_dirReg
    .private_segment_fixed_size: 0
    .sgpr_count:     36
    .sgpr_spill_count: 0
    .symbol:         fft_rtc_back_len1458_factors_6_3_3_3_3_3_wgs_243_tpt_243_halfLds_dp_op_CI_CI_sbrr_dirReg.kd
    .uniform_work_group_size: 1
    .uses_dynamic_stack: false
    .vgpr_count:     56
    .vgpr_spill_count: 0
    .wavefront_size: 64
amdhsa.target:   amdgcn-amd-amdhsa--gfx906
amdhsa.version:
  - 1
  - 2
...

	.end_amdgpu_metadata
